;; amdgpu-corpus repo=ROCm/rocFFT kind=compiled arch=gfx906 opt=O3
	.text
	.amdgcn_target "amdgcn-amd-amdhsa--gfx906"
	.amdhsa_code_object_version 6
	.protected	fft_rtc_back_len220_factors_10_2_11_wgs_110_tpt_22_sp_ip_CI_unitstride_sbrr_dirReg ; -- Begin function fft_rtc_back_len220_factors_10_2_11_wgs_110_tpt_22_sp_ip_CI_unitstride_sbrr_dirReg
	.globl	fft_rtc_back_len220_factors_10_2_11_wgs_110_tpt_22_sp_ip_CI_unitstride_sbrr_dirReg
	.p2align	8
	.type	fft_rtc_back_len220_factors_10_2_11_wgs_110_tpt_22_sp_ip_CI_unitstride_sbrr_dirReg,@function
fft_rtc_back_len220_factors_10_2_11_wgs_110_tpt_22_sp_ip_CI_unitstride_sbrr_dirReg: ; @fft_rtc_back_len220_factors_10_2_11_wgs_110_tpt_22_sp_ip_CI_unitstride_sbrr_dirReg
; %bb.0:
	s_load_dwordx2 s[2:3], s[4:5], 0x50
	s_load_dwordx4 s[8:11], s[4:5], 0x0
	s_load_dwordx2 s[12:13], s[4:5], 0x18
	v_mul_u32_u24_e32 v1, 0xba3, v0
	v_lshrrev_b32_e32 v1, 16, v1
	v_mad_u64_u32 v[1:2], s[0:1], s6, 5, v[1:2]
	v_mov_b32_e32 v5, 0
	s_waitcnt lgkmcnt(0)
	v_cmp_lt_u64_e64 s[0:1], s[10:11], 2
	v_mov_b32_e32 v2, v5
	v_mov_b32_e32 v3, 0
	;; [unrolled: 1-line block ×3, first 2 shown]
	s_and_b64 vcc, exec, s[0:1]
	v_mov_b32_e32 v4, 0
	v_mov_b32_e32 v9, v1
	s_cbranch_vccnz .LBB0_8
; %bb.1:
	s_load_dwordx2 s[0:1], s[4:5], 0x10
	s_add_u32 s6, s12, 8
	s_addc_u32 s7, s13, 0
	v_mov_b32_e32 v3, 0
	v_mov_b32_e32 v8, v2
	s_waitcnt lgkmcnt(0)
	s_add_u32 s16, s0, 8
	s_mov_b64 s[14:15], 1
	v_mov_b32_e32 v4, 0
	s_addc_u32 s17, s1, 0
	v_mov_b32_e32 v7, v1
.LBB0_2:                                ; =>This Inner Loop Header: Depth=1
	s_load_dwordx2 s[18:19], s[16:17], 0x0
                                        ; implicit-def: $vgpr9_vgpr10
	s_waitcnt lgkmcnt(0)
	v_or_b32_e32 v6, s19, v8
	v_cmp_ne_u64_e32 vcc, 0, v[5:6]
	s_and_saveexec_b64 s[0:1], vcc
	s_xor_b64 s[20:21], exec, s[0:1]
	s_cbranch_execz .LBB0_4
; %bb.3:                                ;   in Loop: Header=BB0_2 Depth=1
	v_cvt_f32_u32_e32 v2, s18
	v_cvt_f32_u32_e32 v6, s19
	s_sub_u32 s0, 0, s18
	s_subb_u32 s1, 0, s19
	v_mac_f32_e32 v2, 0x4f800000, v6
	v_rcp_f32_e32 v2, v2
	v_mul_f32_e32 v2, 0x5f7ffffc, v2
	v_mul_f32_e32 v6, 0x2f800000, v2
	v_trunc_f32_e32 v6, v6
	v_mac_f32_e32 v2, 0xcf800000, v6
	v_cvt_u32_f32_e32 v6, v6
	v_cvt_u32_f32_e32 v2, v2
	v_mul_lo_u32 v9, s0, v6
	v_mul_hi_u32 v10, s0, v2
	v_mul_lo_u32 v12, s1, v2
	v_mul_lo_u32 v11, s0, v2
	v_add_u32_e32 v9, v10, v9
	v_add_u32_e32 v9, v9, v12
	v_mul_hi_u32 v10, v2, v11
	v_mul_lo_u32 v12, v2, v9
	v_mul_hi_u32 v14, v2, v9
	v_mul_hi_u32 v13, v6, v11
	v_mul_lo_u32 v11, v6, v11
	v_mul_hi_u32 v15, v6, v9
	v_add_co_u32_e32 v10, vcc, v10, v12
	v_addc_co_u32_e32 v12, vcc, 0, v14, vcc
	v_mul_lo_u32 v9, v6, v9
	v_add_co_u32_e32 v10, vcc, v10, v11
	v_addc_co_u32_e32 v10, vcc, v12, v13, vcc
	v_addc_co_u32_e32 v11, vcc, 0, v15, vcc
	v_add_co_u32_e32 v9, vcc, v10, v9
	v_addc_co_u32_e32 v10, vcc, 0, v11, vcc
	v_add_co_u32_e32 v2, vcc, v2, v9
	v_addc_co_u32_e32 v6, vcc, v6, v10, vcc
	v_mul_lo_u32 v9, s0, v6
	v_mul_hi_u32 v10, s0, v2
	v_mul_lo_u32 v11, s1, v2
	v_mul_lo_u32 v12, s0, v2
	v_add_u32_e32 v9, v10, v9
	v_add_u32_e32 v9, v9, v11
	v_mul_lo_u32 v13, v2, v9
	v_mul_hi_u32 v14, v2, v12
	v_mul_hi_u32 v15, v2, v9
	;; [unrolled: 1-line block ×3, first 2 shown]
	v_mul_lo_u32 v12, v6, v12
	v_mul_hi_u32 v10, v6, v9
	v_add_co_u32_e32 v13, vcc, v14, v13
	v_addc_co_u32_e32 v14, vcc, 0, v15, vcc
	v_mul_lo_u32 v9, v6, v9
	v_add_co_u32_e32 v12, vcc, v13, v12
	v_addc_co_u32_e32 v11, vcc, v14, v11, vcc
	v_addc_co_u32_e32 v10, vcc, 0, v10, vcc
	v_add_co_u32_e32 v9, vcc, v11, v9
	v_addc_co_u32_e32 v10, vcc, 0, v10, vcc
	v_add_co_u32_e32 v2, vcc, v2, v9
	v_addc_co_u32_e32 v6, vcc, v6, v10, vcc
	v_mad_u64_u32 v[9:10], s[0:1], v7, v6, 0
	v_mul_hi_u32 v11, v7, v2
	v_add_co_u32_e32 v13, vcc, v11, v9
	v_addc_co_u32_e32 v14, vcc, 0, v10, vcc
	v_mad_u64_u32 v[9:10], s[0:1], v8, v2, 0
	v_mad_u64_u32 v[11:12], s[0:1], v8, v6, 0
	v_add_co_u32_e32 v2, vcc, v13, v9
	v_addc_co_u32_e32 v2, vcc, v14, v10, vcc
	v_addc_co_u32_e32 v6, vcc, 0, v12, vcc
	v_add_co_u32_e32 v2, vcc, v2, v11
	v_addc_co_u32_e32 v6, vcc, 0, v6, vcc
	v_mul_lo_u32 v11, s19, v2
	v_mul_lo_u32 v12, s18, v6
	v_mad_u64_u32 v[9:10], s[0:1], s18, v2, 0
	v_add3_u32 v10, v10, v12, v11
	v_sub_u32_e32 v11, v8, v10
	v_mov_b32_e32 v12, s19
	v_sub_co_u32_e32 v9, vcc, v7, v9
	v_subb_co_u32_e64 v11, s[0:1], v11, v12, vcc
	v_subrev_co_u32_e64 v12, s[0:1], s18, v9
	v_subbrev_co_u32_e64 v11, s[0:1], 0, v11, s[0:1]
	v_cmp_le_u32_e64 s[0:1], s19, v11
	v_cndmask_b32_e64 v13, 0, -1, s[0:1]
	v_cmp_le_u32_e64 s[0:1], s18, v12
	v_cndmask_b32_e64 v12, 0, -1, s[0:1]
	v_cmp_eq_u32_e64 s[0:1], s19, v11
	v_cndmask_b32_e64 v11, v13, v12, s[0:1]
	v_add_co_u32_e64 v12, s[0:1], 2, v2
	v_addc_co_u32_e64 v13, s[0:1], 0, v6, s[0:1]
	v_add_co_u32_e64 v14, s[0:1], 1, v2
	v_addc_co_u32_e64 v15, s[0:1], 0, v6, s[0:1]
	v_subb_co_u32_e32 v10, vcc, v8, v10, vcc
	v_cmp_ne_u32_e64 s[0:1], 0, v11
	v_cmp_le_u32_e32 vcc, s19, v10
	v_cndmask_b32_e64 v11, v15, v13, s[0:1]
	v_cndmask_b32_e64 v13, 0, -1, vcc
	v_cmp_le_u32_e32 vcc, s18, v9
	v_cndmask_b32_e64 v9, 0, -1, vcc
	v_cmp_eq_u32_e32 vcc, s19, v10
	v_cndmask_b32_e32 v9, v13, v9, vcc
	v_cmp_ne_u32_e32 vcc, 0, v9
	v_cndmask_b32_e32 v10, v6, v11, vcc
	v_cndmask_b32_e64 v6, v14, v12, s[0:1]
	v_cndmask_b32_e32 v9, v2, v6, vcc
.LBB0_4:                                ;   in Loop: Header=BB0_2 Depth=1
	s_andn2_saveexec_b64 s[0:1], s[20:21]
	s_cbranch_execz .LBB0_6
; %bb.5:                                ;   in Loop: Header=BB0_2 Depth=1
	v_cvt_f32_u32_e32 v2, s18
	s_sub_i32 s20, 0, s18
	v_rcp_iflag_f32_e32 v2, v2
	v_mul_f32_e32 v2, 0x4f7ffffe, v2
	v_cvt_u32_f32_e32 v2, v2
	v_mul_lo_u32 v6, s20, v2
	v_mul_hi_u32 v6, v2, v6
	v_add_u32_e32 v2, v2, v6
	v_mul_hi_u32 v2, v7, v2
	v_mul_lo_u32 v6, v2, s18
	v_add_u32_e32 v9, 1, v2
	v_sub_u32_e32 v6, v7, v6
	v_subrev_u32_e32 v10, s18, v6
	v_cmp_le_u32_e32 vcc, s18, v6
	v_cndmask_b32_e32 v6, v6, v10, vcc
	v_cndmask_b32_e32 v2, v2, v9, vcc
	v_add_u32_e32 v9, 1, v2
	v_cmp_le_u32_e32 vcc, s18, v6
	v_cndmask_b32_e32 v9, v2, v9, vcc
	v_mov_b32_e32 v10, v5
.LBB0_6:                                ;   in Loop: Header=BB0_2 Depth=1
	s_or_b64 exec, exec, s[0:1]
	v_mul_lo_u32 v2, v10, s18
	v_mul_lo_u32 v6, v9, s19
	v_mad_u64_u32 v[11:12], s[0:1], v9, s18, 0
	s_load_dwordx2 s[0:1], s[6:7], 0x0
	s_add_u32 s14, s14, 1
	v_add3_u32 v2, v12, v6, v2
	v_sub_co_u32_e32 v6, vcc, v7, v11
	v_subb_co_u32_e32 v2, vcc, v8, v2, vcc
	s_waitcnt lgkmcnt(0)
	v_mul_lo_u32 v2, s0, v2
	v_mul_lo_u32 v7, s1, v6
	v_mad_u64_u32 v[3:4], s[0:1], s0, v6, v[3:4]
	s_addc_u32 s15, s15, 0
	s_add_u32 s6, s6, 8
	v_add3_u32 v4, v7, v4, v2
	v_mov_b32_e32 v6, s10
	v_mov_b32_e32 v7, s11
	s_addc_u32 s7, s7, 0
	v_cmp_ge_u64_e32 vcc, s[14:15], v[6:7]
	s_add_u32 s16, s16, 8
	s_addc_u32 s17, s17, 0
	s_cbranch_vccnz .LBB0_8
; %bb.7:                                ;   in Loop: Header=BB0_2 Depth=1
	v_mov_b32_e32 v7, v9
	v_mov_b32_e32 v8, v10
	s_branch .LBB0_2
.LBB0_8:
	s_lshl_b64 s[0:1], s[10:11], 3
	s_add_u32 s0, s12, s0
	s_addc_u32 s1, s13, s1
	s_load_dwordx2 s[6:7], s[0:1], 0x0
	s_load_dwordx2 s[10:11], s[4:5], 0x20
                                        ; implicit-def: $vgpr15
                                        ; implicit-def: $vgpr7
                                        ; implicit-def: $vgpr17
                                        ; implicit-def: $vgpr13
                                        ; implicit-def: $vgpr25
                                        ; implicit-def: $vgpr11
                                        ; implicit-def: $vgpr19
	s_waitcnt lgkmcnt(0)
	v_mad_u64_u32 v[2:3], s[0:1], s6, v9, v[3:4]
	v_mul_lo_u32 v5, s6, v10
	v_mul_lo_u32 v6, s7, v9
	s_mov_b32 s0, 0xba2e8bb
	v_mul_hi_u32 v4, v0, s0
	v_cmp_gt_u64_e32 vcc, s[10:11], v[9:10]
	v_add3_u32 v3, v6, v3, v5
	v_lshlrev_b64 v[22:23], 3, v[2:3]
	v_mul_u32_u24_e32 v4, 22, v4
	v_sub_u32_e32 v20, v0, v4
                                        ; implicit-def: $vgpr3
                                        ; implicit-def: $vgpr5
                                        ; implicit-def: $vgpr9
	s_and_saveexec_b64 s[4:5], vcc
	s_cbranch_execz .LBB0_10
; %bb.9:
	v_mov_b32_e32 v21, 0
	v_mov_b32_e32 v0, s3
	v_add_co_u32_e64 v4, s[0:1], s2, v22
	v_lshlrev_b64 v[2:3], 3, v[20:21]
	v_addc_co_u32_e64 v0, s[0:1], v0, v23, s[0:1]
	v_add_co_u32_e64 v26, s[0:1], v4, v2
	v_addc_co_u32_e64 v27, s[0:1], v0, v3, s[0:1]
	global_load_dwordx2 v[2:3], v[26:27], off
	global_load_dwordx2 v[4:5], v[26:27], off offset:176
	global_load_dwordx2 v[14:15], v[26:27], off offset:352
	;; [unrolled: 1-line block ×9, first 2 shown]
.LBB0_10:
	s_or_b64 exec, exec, s[4:5]
	s_mov_b32 s0, 0xcccccccd
	v_mul_hi_u32 v0, v1, s0
	s_waitcnt vmcnt(7)
	v_add_f32_e32 v21, v2, v14
	v_add_f32_e32 v28, v3, v15
	s_waitcnt vmcnt(5)
	v_add_f32_e32 v21, v21, v16
	v_lshrrev_b32_e32 v0, 2, v0
	v_add_f32_e32 v28, v28, v17
	v_lshl_add_u32 v0, v0, 2, v0
	s_waitcnt vmcnt(3)
	v_add_f32_e32 v21, v21, v18
	v_add_f32_e32 v28, v28, v19
	;; [unrolled: 1-line block ×3, first 2 shown]
	v_sub_u32_e32 v0, v1, v0
	v_sub_f32_e32 v1, v17, v19
	v_sub_f32_e32 v27, v14, v16
	;; [unrolled: 1-line block ×3, first 2 shown]
	v_add_f32_e32 v30, v17, v19
	v_sub_f32_e32 v16, v16, v18
	v_sub_f32_e32 v31, v15, v17
	;; [unrolled: 1-line block ×3, first 2 shown]
	s_waitcnt vmcnt(1)
	v_sub_f32_e32 v32, v15, v25
	v_add_f32_e32 v33, v14, v24
	v_sub_f32_e32 v14, v14, v24
	v_add_f32_e32 v15, v15, v25
	v_sub_f32_e32 v34, v24, v18
	v_sub_f32_e32 v18, v18, v24
	;; [unrolled: 1-line block ×4, first 2 shown]
	v_add_f32_e32 v21, v24, v21
	v_add_f32_e32 v24, v25, v28
	;; [unrolled: 1-line block ×5, first 2 shown]
	v_fma_f32 v26, -0.5, v26, v2
	v_add_f32_e32 v36, v8, v10
	v_sub_f32_e32 v38, v6, v8
	v_sub_f32_e32 v39, v8, v6
	;; [unrolled: 1-line block ×3, first 2 shown]
	s_waitcnt vmcnt(0)
	v_add_f32_e32 v43, v6, v12
	v_sub_f32_e32 v6, v6, v12
	v_sub_f32_e32 v44, v12, v10
	;; [unrolled: 1-line block ×3, first 2 shown]
	v_add_f32_e32 v12, v12, v25
	v_add_f32_e32 v25, v27, v34
	v_mov_b32_e32 v27, v26
	v_fmac_f32_e32 v27, 0xbf737871, v32
	v_fmac_f32_e32 v26, 0x3f737871, v32
	v_add_f32_e32 v28, v5, v7
	v_fmac_f32_e32 v27, 0xbf167918, v1
	v_fmac_f32_e32 v26, 0x3f167918, v1
	v_fmac_f32_e32 v2, -0.5, v33
	v_add_f32_e32 v28, v28, v9
	v_fmac_f32_e32 v27, 0x3e9e377a, v25
	v_fmac_f32_e32 v26, 0x3e9e377a, v25
	v_mov_b32_e32 v25, v2
	v_add_f32_e32 v28, v28, v11
	v_fmac_f32_e32 v25, 0x3f737871, v1
	v_fmac_f32_e32 v2, 0xbf737871, v1
	v_sub_f32_e32 v37, v9, v11
	v_add_f32_e32 v40, v9, v11
	v_sub_f32_e32 v41, v7, v9
	v_sub_f32_e32 v9, v9, v7
	;; [unrolled: 1-line block ×3, first 2 shown]
	v_add_f32_e32 v7, v7, v13
	v_sub_f32_e32 v45, v13, v11
	v_sub_f32_e32 v11, v11, v13
	v_add_f32_e32 v13, v13, v28
	v_add_f32_e32 v18, v29, v18
	v_fmac_f32_e32 v25, 0xbf167918, v32
	v_fmac_f32_e32 v2, 0x3f167918, v32
	v_fma_f32 v28, -0.5, v30, v3
	v_fmac_f32_e32 v25, 0x3e9e377a, v18
	v_fmac_f32_e32 v2, 0x3e9e377a, v18
	v_mov_b32_e32 v18, v28
	v_fmac_f32_e32 v18, 0x3f737871, v14
	v_fmac_f32_e32 v28, 0xbf737871, v14
	v_fmac_f32_e32 v3, -0.5, v15
	v_add_f32_e32 v1, v31, v35
	v_fmac_f32_e32 v18, 0x3f167918, v16
	v_fmac_f32_e32 v28, 0xbf167918, v16
	v_mov_b32_e32 v15, v3
	v_fmac_f32_e32 v18, 0x3e9e377a, v1
	v_fmac_f32_e32 v28, 0x3e9e377a, v1
	v_add_f32_e32 v1, v17, v19
	v_fmac_f32_e32 v15, 0xbf737871, v16
	v_fmac_f32_e32 v3, 0x3f737871, v16
	v_fma_f32 v17, -0.5, v36, v4
	v_fmac_f32_e32 v15, 0x3f167918, v14
	v_fmac_f32_e32 v3, 0xbf167918, v14
	v_mov_b32_e32 v14, v17
	v_fmac_f32_e32 v4, -0.5, v43
	v_fmac_f32_e32 v14, 0xbf737871, v42
	v_fmac_f32_e32 v17, 0x3f737871, v42
	v_mov_b32_e32 v16, v4
	v_fmac_f32_e32 v15, 0x3e9e377a, v1
	v_fmac_f32_e32 v3, 0x3e9e377a, v1
	v_add_f32_e32 v1, v38, v44
	v_fmac_f32_e32 v14, 0xbf167918, v37
	v_fmac_f32_e32 v17, 0x3f167918, v37
	;; [unrolled: 1-line block ×6, first 2 shown]
	v_add_f32_e32 v1, v39, v10
	v_fmac_f32_e32 v16, 0xbf167918, v42
	v_fmac_f32_e32 v4, 0x3f167918, v42
	v_fma_f32 v19, -0.5, v40, v5
	v_fmac_f32_e32 v16, 0x3e9e377a, v1
	v_fmac_f32_e32 v4, 0x3e9e377a, v1
	v_mov_b32_e32 v1, v19
	v_fmac_f32_e32 v5, -0.5, v7
	v_fmac_f32_e32 v1, 0x3f737871, v6
	v_fmac_f32_e32 v19, 0xbf737871, v6
	v_mov_b32_e32 v30, v5
	v_mul_u32_u24_e32 v29, 0xdc, v0
	v_add_f32_e32 v0, v41, v45
	v_fmac_f32_e32 v1, 0x3f167918, v8
	v_fmac_f32_e32 v19, 0xbf167918, v8
	;; [unrolled: 1-line block ×6, first 2 shown]
	v_add_f32_e32 v0, v9, v11
	v_fmac_f32_e32 v5, 0x3f737871, v8
	v_fmac_f32_e32 v30, 0x3e9e377a, v0
	;; [unrolled: 1-line block ×3, first 2 shown]
	v_mul_f32_e32 v9, 0xbf167918, v1
	v_mul_f32_e32 v11, 0x3f167918, v14
	v_fmac_f32_e32 v5, 0x3e9e377a, v0
	v_fmac_f32_e32 v9, 0x3f4f1bbd, v14
	;; [unrolled: 1-line block ×3, first 2 shown]
	v_mul_f32_e32 v14, 0xbf737871, v30
	v_add_f32_e32 v1, v13, v24
	v_sub_f32_e32 v7, v24, v13
	v_mul_f32_e32 v13, 0x3e9e377a, v30
	v_lshlrev_b32_e32 v30, 3, v29
	v_add_f32_e32 v0, v12, v21
	v_mul_f32_e32 v31, 0xbf737871, v5
	v_mul_f32_e32 v32, 0xbe9e377a, v5
	v_fmac_f32_e32 v14, 0x3e9e377a, v16
	v_sub_f32_e32 v6, v21, v12
	v_add_f32_e32 v5, v18, v11
	v_sub_f32_e32 v11, v18, v11
	v_mul_f32_e32 v18, 0xbf167918, v19
	v_mul_f32_e32 v19, 0xbf4f1bbd, v19
	v_mul_u32_u24_e32 v21, 10, v20
	v_add_u32_e32 v24, 0, v30
	v_fmac_f32_e32 v31, 0xbe9e377a, v4
	v_fmac_f32_e32 v32, 0x3f737871, v4
	v_add_f32_e32 v4, v27, v9
	v_add_f32_e32 v8, v25, v14
	v_fmac_f32_e32 v13, 0x3f737871, v16
	v_fmac_f32_e32 v18, 0xbf4f1bbd, v17
	v_sub_f32_e32 v14, v25, v14
	v_fmac_f32_e32 v19, 0x3f167918, v17
	v_lshl_add_u32 v25, v21, 3, v24
	s_movk_i32 s0, 0xcd
	v_sub_f32_e32 v10, v27, v9
	v_add_f32_e32 v12, v2, v31
	v_add_f32_e32 v9, v15, v13
	v_sub_f32_e32 v15, v15, v13
	v_add_f32_e32 v16, v26, v18
	v_add_f32_e32 v13, v3, v32
	;; [unrolled: 1-line block ×3, first 2 shown]
	v_sub_f32_e32 v2, v2, v31
	v_sub_f32_e32 v18, v26, v18
	;; [unrolled: 1-line block ×4, first 2 shown]
	ds_write2_b64 v25, v[0:1], v[4:5] offset1:1
	ds_write2_b64 v25, v[8:9], v[12:13] offset0:2 offset1:3
	ds_write2_b64 v25, v[16:17], v[6:7] offset0:4 offset1:5
	;; [unrolled: 1-line block ×4, first 2 shown]
	v_mul_lo_u16_sdwa v0, v20, s0 dst_sel:DWORD dst_unused:UNUSED_PAD src0_sel:BYTE_0 src1_sel:DWORD
	v_lshrrev_b16_e32 v31, 11, v0
	v_mul_lo_u16_e32 v0, 10, v31
	v_sub_u16_e32 v0, v20, v0
	v_mov_b32_e32 v1, 3
	v_lshlrev_b32_sdwa v32, v1, v0 dst_sel:DWORD dst_unused:UNUSED_PAD src0_sel:DWORD src1_sel:BYTE_0
	v_add_u16_e32 v0, 22, v20
	v_mul_lo_u16_sdwa v2, v0, s0 dst_sel:DWORD dst_unused:UNUSED_PAD src0_sel:BYTE_0 src1_sel:DWORD
	v_lshrrev_b16_e32 v33, 11, v2
	v_mul_lo_u16_e32 v2, 10, v33
	v_sub_u16_e32 v0, v0, v2
	v_lshlrev_b32_sdwa v34, v1, v0 dst_sel:DWORD dst_unused:UNUSED_PAD src0_sel:DWORD src1_sel:BYTE_0
	v_add_u16_e32 v0, 44, v20
	v_mul_lo_u16_sdwa v2, v0, s0 dst_sel:DWORD dst_unused:UNUSED_PAD src0_sel:BYTE_0 src1_sel:DWORD
	v_lshrrev_b16_e32 v35, 11, v2
	s_waitcnt lgkmcnt(0)
	s_barrier
	global_load_dwordx2 v[4:5], v32, s[8:9]
	global_load_dwordx2 v[8:9], v34, s[8:9]
	v_mul_lo_u16_e32 v2, 10, v35
	v_sub_u16_e32 v0, v0, v2
	v_lshlrev_b32_sdwa v36, v1, v0 dst_sel:DWORD dst_unused:UNUSED_PAD src0_sel:DWORD src1_sel:BYTE_0
	global_load_dwordx2 v[10:11], v36, s[8:9]
	v_add_u16_e32 v0, 0x42, v20
	v_mul_lo_u16_sdwa v2, v0, s0 dst_sel:DWORD dst_unused:UNUSED_PAD src0_sel:BYTE_0 src1_sel:DWORD
	v_lshrrev_b16_e32 v37, 11, v2
	v_mul_lo_u16_e32 v2, 10, v37
	v_sub_u16_e32 v0, v0, v2
	v_lshlrev_b32_sdwa v38, v1, v0 dst_sel:DWORD dst_unused:UNUSED_PAD src0_sel:DWORD src1_sel:BYTE_0
	global_load_dwordx2 v[12:13], v38, s[8:9]
	v_add_u16_e32 v0, 0x58, v20
	v_mul_lo_u16_sdwa v2, v0, s0 dst_sel:DWORD dst_unused:UNUSED_PAD src0_sel:BYTE_0 src1_sel:DWORD
	v_lshrrev_b16_e32 v39, 11, v2
	v_mul_lo_u16_e32 v2, 10, v39
	v_sub_u16_e32 v0, v0, v2
	v_lshlrev_b32_sdwa v40, v1, v0 dst_sel:DWORD dst_unused:UNUSED_PAD src0_sel:DWORD src1_sel:BYTE_0
	global_load_dwordx2 v[14:15], v40, s[8:9]
	s_movk_i32 s0, 0xffb8
	v_mad_i32_i24 v18, v20, s0, v25
	ds_read2_b64 v[0:3], v18 offset0:110 offset1:132
	v_lshl_add_u32 v19, v20, 3, v24
	ds_read2_b64 v[24:27], v18 offset0:66 offset1:88
	ds_read_b64 v[28:29], v19
	s_movk_i32 s0, 0xa0
	s_waitcnt vmcnt(4) lgkmcnt(2)
	v_mul_f32_e32 v41, v5, v1
	v_fmac_f32_e32 v41, v4, v0
	v_mul_f32_e32 v0, v5, v0
	v_fma_f32 v42, v4, v1, -v0
	ds_read2_b64 v[4:7], v18 offset0:154 offset1:176
	s_waitcnt vmcnt(3)
	v_mul_f32_e32 v16, v9, v3
	v_mul_f32_e32 v0, v9, v2
	v_fmac_f32_e32 v16, v8, v2
	v_fma_f32 v2, v8, v3, -v0
	s_waitcnt vmcnt(2) lgkmcnt(0)
	v_mul_f32_e32 v3, v11, v5
	v_mul_f32_e32 v0, v11, v4
	v_fmac_f32_e32 v3, v10, v4
	v_fma_f32 v10, v10, v5, -v0
	ds_read_b64 v[0:1], v18 offset:1584
	s_waitcnt vmcnt(1)
	v_mul_f32_e32 v17, v13, v7
	v_mul_f32_e32 v4, v13, v6
	v_fmac_f32_e32 v17, v12, v6
	v_fma_f32 v13, v12, v7, -v4
	ds_read2_b64 v[6:9], v18 offset0:22 offset1:44
	s_waitcnt vmcnt(0) lgkmcnt(1)
	v_mul_f32_e32 v43, v15, v1
	v_fmac_f32_e32 v43, v14, v0
	v_mul_f32_e32 v0, v15, v0
	v_fma_f32 v14, v14, v1, -v0
	s_waitcnt lgkmcnt(0)
	v_sub_f32_e32 v4, v6, v16
	v_sub_f32_e32 v5, v7, v2
	;; [unrolled: 1-line block ×5, first 2 shown]
	v_fma_f32 v10, v6, 2.0, -v4
	v_fma_f32 v11, v7, 2.0, -v5
	;; [unrolled: 1-line block ×4, first 2 shown]
	v_sub_f32_e32 v12, v24, v17
	v_sub_f32_e32 v13, v25, v13
	;; [unrolled: 1-line block ×3, first 2 shown]
	v_fma_f32 v14, v26, 2.0, -v16
	v_sub_f32_e32 v8, v28, v41
	v_sub_f32_e32 v9, v29, v42
	v_mad_u32_u24 v26, v31, s0, 0
	v_fma_f32 v2, v24, 2.0, -v12
	v_fma_f32 v3, v25, 2.0, -v13
	;; [unrolled: 1-line block ×5, first 2 shown]
	v_add3_u32 v26, v26, v32, v30
	v_mad_u32_u24 v27, v33, s0, 0
	v_mad_u32_u24 v28, v35, s0, 0
	v_mad_u32_u24 v29, v37, s0, 0
	v_mad_u32_u24 v31, v39, s0, 0
	v_cmp_gt_u32_e64 s[0:1], 20, v20
	v_add3_u32 v27, v27, v34, v30
	v_add3_u32 v28, v28, v36, v30
	v_add3_u32 v29, v29, v38, v30
	v_add3_u32 v30, v31, v40, v30
	s_barrier
	ds_write2_b64 v26, v[24:25], v[8:9] offset1:10
	ds_write2_b64 v27, v[10:11], v[4:5] offset1:10
	;; [unrolled: 1-line block ×5, first 2 shown]
	s_waitcnt lgkmcnt(0)
	s_barrier
	s_and_saveexec_b64 s[4:5], s[0:1]
	s_cbranch_execnz .LBB0_13
; %bb.11:
	s_or_b64 exec, exec, s[4:5]
	s_and_b64 s[0:1], vcc, s[0:1]
	s_and_saveexec_b64 s[4:5], s[0:1]
	s_cbranch_execnz .LBB0_14
.LBB0_12:
	s_endpgm
.LBB0_13:
	ds_read_b64 v[24:25], v19
	ds_read2_b64 v[8:11], v18 offset0:20 offset1:40
	ds_read2_b64 v[4:7], v18 offset0:60 offset1:80
	ds_read2_b64 v[0:3], v18 offset0:100 offset1:120
	ds_read2_b64 v[12:15], v18 offset0:140 offset1:160
	ds_read2_b64 v[16:19], v18 offset0:180 offset1:200
	s_or_b64 exec, exec, s[4:5]
	s_and_b64 s[0:1], vcc, s[0:1]
	s_and_saveexec_b64 s[4:5], s[0:1]
	s_cbranch_execz .LBB0_12
.LBB0_14:
	v_lshlrev_b32_e32 v21, 3, v21
	global_load_dwordx4 v[26:29], v21, s[8:9] offset:80
	global_load_dwordx4 v[30:33], v21, s[8:9] offset:144
	;; [unrolled: 1-line block ×5, first 2 shown]
	s_mov_b32 s0, 0xbf75a155
	s_mov_b32 s1, 0x3f575c64
	;; [unrolled: 1-line block ×5, first 2 shown]
	v_add_co_u32_e32 v22, vcc, s2, v22
	s_waitcnt vmcnt(4) lgkmcnt(4)
	v_mul_f32_e32 v21, v8, v27
	v_mul_f32_e32 v46, v10, v29
	;; [unrolled: 1-line block ×3, first 2 shown]
	s_waitcnt vmcnt(3) lgkmcnt(0)
	v_mul_f32_e32 v47, v18, v33
	v_mul_f32_e32 v27, v9, v27
	;; [unrolled: 1-line block ×3, first 2 shown]
	s_waitcnt vmcnt(2)
	v_mul_f32_e32 v52, v12, v35
	v_mul_f32_e32 v35, v13, v35
	v_fma_f32 v21, v9, v26, -v21
	v_fmac_f32_e32 v29, v10, v28
	v_fma_f32 v10, v19, v32, -v47
	v_mul_f32_e32 v33, v19, v33
	v_mul_f32_e32 v31, v17, v31
	v_mul_f32_e32 v49, v14, v37
	s_waitcnt vmcnt(1)
	v_mul_f32_e32 v50, v4, v39
	v_mul_f32_e32 v39, v5, v39
	v_fmac_f32_e32 v27, v8, v26
	v_fma_f32 v11, v11, v28, -v46
	v_fma_f32 v17, v17, v30, -v48
	;; [unrolled: 1-line block ×3, first 2 shown]
	v_fmac_f32_e32 v35, v12, v34
	v_add_f32_e32 v8, v10, v21
	v_sub_f32_e32 v34, v21, v10
	v_mul_f32_e32 v37, v15, v37
	v_mul_f32_e32 v51, v6, v41
	s_waitcnt vmcnt(0)
	v_mul_f32_e32 v53, v2, v45
	v_mul_f32_e32 v54, v0, v43
	;; [unrolled: 1-line block ×4, first 2 shown]
	v_fmac_f32_e32 v33, v18, v32
	v_fmac_f32_e32 v31, v16, v30
	v_fma_f32 v16, v5, v38, -v50
	v_fmac_f32_e32 v39, v4, v38
	v_fma_f32 v15, v15, v36, -v49
	v_add_f32_e32 v9, v17, v11
	v_sub_f32_e32 v38, v11, v17
	v_mul_f32_e32 v49, 0xbf75a155, v8
	v_mul_f32_e32 v52, 0xbe903f40, v34
	v_fma_f32 v18, v7, v40, -v51
	v_fmac_f32_e32 v37, v14, v36
	v_fma_f32 v12, v3, v44, -v53
	v_fma_f32 v14, v1, v42, -v54
	v_fmac_f32_e32 v43, v0, v42
	v_fmac_f32_e32 v45, v2, v44
	v_sub_f32_e32 v26, v27, v33
	v_add_f32_e32 v32, v33, v27
	v_sub_f32_e32 v42, v16, v15
	v_mul_f32_e32 v50, 0x3f575c64, v9
	v_mul_f32_e32 v53, 0x3f0a6770, v38
	v_mov_b32_e32 v0, v49
	v_mov_b32_e32 v2, v52
	v_mul_f32_e32 v41, v7, v41
	v_sub_f32_e32 v28, v29, v31
	v_add_f32_e32 v19, v15, v16
	v_add_f32_e32 v36, v31, v29
	v_sub_f32_e32 v48, v18, v13
	v_mul_f32_e32 v54, 0xbf4178ce, v42
	v_mov_b32_e32 v1, v50
	v_mov_b32_e32 v3, v53
	v_fmac_f32_e32 v0, 0x3e903f40, v26
	v_fmac_f32_e32 v2, 0xbf75a155, v32
	;; [unrolled: 1-line block ×3, first 2 shown]
	v_add_f32_e32 v40, v37, v39
	v_add_f32_e32 v44, v13, v18
	v_mul_f32_e32 v51, 0xbf27a4f4, v19
	v_mul_f32_e32 v56, 0x3f68dda4, v48
	v_mov_b32_e32 v5, v54
	v_fmac_f32_e32 v1, 0xbf0a6770, v28
	v_fmac_f32_e32 v3, 0x3f575c64, v36
	v_add_f32_e32 v0, v25, v0
	v_add_f32_e32 v2, v24, v2
	v_sub_f32_e32 v30, v39, v37
	v_add_f32_e32 v47, v35, v41
	v_mul_f32_e32 v55, 0x3ed4b147, v44
	v_mov_b32_e32 v4, v51
	v_fmac_f32_e32 v5, 0xbf27a4f4, v40
	v_add_f32_e32 v0, v0, v1
	v_add_f32_e32 v1, v2, v3
	v_mov_b32_e32 v2, v56
	v_add_f32_e32 v57, v12, v14
	v_sub_f32_e32 v46, v41, v35
	v_mov_b32_e32 v6, v55
	v_fmac_f32_e32 v4, 0x3f4178ce, v30
	v_add_f32_e32 v1, v1, v5
	v_fmac_f32_e32 v2, 0x3ed4b147, v47
	v_mul_f32_e32 v58, 0xbe11bafb, v57
	v_fmac_f32_e32 v6, 0xbf68dda4, v46
	v_add_f32_e32 v0, v0, v4
	v_add_f32_e32 v2, v1, v2
	v_sub_f32_e32 v59, v43, v45
	v_mov_b32_e32 v1, v58
	v_sub_f32_e32 v61, v14, v12
	v_add_f32_e32 v0, v0, v6
	v_fmac_f32_e32 v1, 0x3f7d64f0, v59
	v_mul_f32_e32 v62, 0xbf7d64f0, v61
	v_add_f32_e32 v1, v0, v1
	v_add_f32_e32 v60, v45, v43
	v_mov_b32_e32 v0, v62
	v_fmac_f32_e32 v0, 0xbe11bafb, v60
	v_mul_f32_e32 v63, 0xbf27a4f4, v8
	v_add_f32_e32 v0, v2, v0
	v_mov_b32_e32 v2, v63
	v_mul_f32_e32 v64, 0xbe11bafb, v9
	v_fmac_f32_e32 v2, 0x3f4178ce, v26
	v_mov_b32_e32 v3, v64
	v_add_f32_e32 v2, v25, v2
	v_fmac_f32_e32 v3, 0xbf7d64f0, v28
	v_mul_f32_e32 v65, 0x3f575c64, v19
	v_add_f32_e32 v2, v2, v3
	v_mov_b32_e32 v3, v65
	v_fmac_f32_e32 v3, 0x3f0a6770, v30
	v_mul_f32_e32 v66, 0xbf75a155, v44
	v_add_f32_e32 v2, v2, v3
	v_mov_b32_e32 v3, v66
	;; [unrolled: 4-line block ×3, first 2 shown]
	v_mul_f32_e32 v68, 0x3f7d64f0, v38
	v_fmac_f32_e32 v3, 0xbf27a4f4, v32
	v_mov_b32_e32 v4, v68
	v_add_f32_e32 v3, v24, v3
	v_fmac_f32_e32 v4, 0xbe11bafb, v36
	v_mul_f32_e32 v69, 0xbf0a6770, v42
	v_add_f32_e32 v3, v3, v4
	v_mov_b32_e32 v4, v69
	v_fmac_f32_e32 v4, 0x3f575c64, v40
	v_mul_f32_e32 v70, 0xbe903f40, v48
	v_add_f32_e32 v3, v3, v4
	v_mov_b32_e32 v4, v70
	;; [unrolled: 4-line block ×5, first 2 shown]
	v_mul_f32_e32 v74, 0xbf75a155, v9
	v_fmac_f32_e32 v4, 0x3f7d64f0, v26
	v_mov_b32_e32 v5, v74
	v_add_f32_e32 v4, v25, v4
	v_fmac_f32_e32 v5, 0xbe903f40, v28
	v_mul_f32_e32 v75, 0x3ed4b147, v19
	v_add_f32_e32 v4, v4, v5
	v_mov_b32_e32 v5, v75
	v_fmac_f32_e32 v5, 0xbf68dda4, v30
	v_mul_f32_e32 v76, 0x3f575c64, v44
	v_add_f32_e32 v4, v4, v5
	v_mov_b32_e32 v5, v76
	;; [unrolled: 4-line block ×3, first 2 shown]
	v_mul_f32_e32 v78, 0x3e903f40, v38
	v_fmac_f32_e32 v5, 0xbe11bafb, v32
	v_mov_b32_e32 v6, v78
	v_add_f32_e32 v5, v24, v5
	v_fmac_f32_e32 v6, 0xbf75a155, v36
	v_mul_f32_e32 v79, 0x3f68dda4, v42
	v_add_f32_e32 v5, v5, v6
	v_mov_b32_e32 v6, v79
	v_fmac_f32_e32 v6, 0x3ed4b147, v40
	v_mul_f32_e32 v80, 0xbf0a6770, v48
	v_add_f32_e32 v5, v5, v6
	v_mov_b32_e32 v6, v80
	;; [unrolled: 4-line block ×5, first 2 shown]
	v_mul_f32_e32 v84, 0xbf27a4f4, v9
	v_fmac_f32_e32 v6, 0x3f68dda4, v26
	v_mov_b32_e32 v7, v84
	v_add_f32_e32 v6, v25, v6
	v_fmac_f32_e32 v7, 0x3f4178ce, v28
	v_mul_f32_e32 v85, 0xbf75a155, v19
	v_add_f32_e32 v6, v6, v7
	v_mov_b32_e32 v7, v85
	v_fmac_f32_e32 v7, 0xbe903f40, v30
	v_mul_f32_e32 v86, 0xbe11bafb, v44
	v_add_f32_e32 v6, v6, v7
	v_mov_b32_e32 v7, v86
	v_fmac_f32_e32 v7, 0xbf7d64f0, v46
	v_mul_f32_e32 v87, 0xbf68dda4, v34
	v_add_f32_e32 v6, v6, v7
	v_mov_b32_e32 v7, v87
	v_mul_f32_e32 v88, 0xbf4178ce, v38
	v_fmac_f32_e32 v7, 0x3ed4b147, v32
	v_mov_b32_e32 v89, v88
	v_add_f32_e32 v7, v24, v7
	v_fmac_f32_e32 v89, 0xbf27a4f4, v36
	v_add_f32_e32 v7, v7, v89
	v_mul_f32_e32 v89, 0x3e903f40, v42
	v_mov_b32_e32 v90, v89
	v_fmac_f32_e32 v90, 0xbf75a155, v40
	v_add_f32_e32 v7, v7, v90
	v_mul_f32_e32 v90, 0x3f7d64f0, v48
	v_mov_b32_e32 v91, v90
	v_fmac_f32_e32 v91, 0xbe11bafb, v47
	v_mul_f32_e32 v92, 0x3f575c64, v57
	v_add_f32_e32 v91, v7, v91
	v_mov_b32_e32 v7, v92
	v_fmac_f32_e32 v7, 0xbf0a6770, v59
	v_mul_f32_e32 v93, 0x3f0a6770, v61
	v_add_f32_e32 v7, v6, v7
	v_mov_b32_e32 v6, v93
	v_fmac_f32_e32 v6, 0x3f575c64, v60
	v_add_f32_e32 v6, v91, v6
	v_mul_f32_e32 v91, 0x3f575c64, v8
	v_mov_b32_e32 v8, v91
	v_mul_f32_e32 v94, 0x3ed4b147, v9
	v_fmac_f32_e32 v8, 0x3f0a6770, v26
	v_mov_b32_e32 v9, v94
	v_add_f32_e32 v8, v25, v8
	v_fmac_f32_e32 v9, 0x3f68dda4, v28
	v_mul_f32_e32 v95, 0xbe11bafb, v19
	v_add_f32_e32 v8, v8, v9
	v_mov_b32_e32 v9, v95
	v_fmac_f32_e32 v9, 0x3f7d64f0, v30
	v_mul_f32_e32 v44, 0xbf27a4f4, v44
	v_add_f32_e32 v8, v8, v9
	v_mov_b32_e32 v9, v44
	;; [unrolled: 4-line block ×3, first 2 shown]
	v_mul_f32_e32 v38, 0xbf68dda4, v38
	v_fmac_f32_e32 v9, 0x3f575c64, v32
	v_mov_b32_e32 v19, v38
	v_add_f32_e32 v9, v24, v9
	v_fmac_f32_e32 v19, 0x3ed4b147, v36
	v_mul_f32_e32 v42, 0xbf7d64f0, v42
	v_add_f32_e32 v9, v9, v19
	v_mov_b32_e32 v19, v42
	v_fmac_f32_e32 v19, 0xbe11bafb, v40
	v_mul_f32_e32 v48, 0xbf4178ce, v48
	v_add_f32_e32 v9, v9, v19
	v_mov_b32_e32 v19, v48
	;; [unrolled: 4-line block ×4, first 2 shown]
	v_fmac_f32_e32 v8, 0xbf75a155, v60
	v_add_f32_e32 v8, v19, v8
	v_add_f32_e32 v19, v25, v21
	;; [unrolled: 1-line block ×19, first 2 shown]
	v_fmac_f32_e32 v49, 0xbe903f40, v26
	v_add_f32_e32 v11, v10, v11
	v_add_f32_e32 v10, v33, v12
	;; [unrolled: 1-line block ×3, first 2 shown]
	v_fmac_f32_e32 v50, 0x3f0a6770, v28
	v_fma_f32 v13, v32, s0, -v52
	v_add_f32_e32 v12, v12, v50
	v_fmac_f32_e32 v51, 0xbf4178ce, v30
	v_add_f32_e32 v13, v24, v13
	v_fma_f32 v14, v36, s1, -v53
	v_add_f32_e32 v12, v12, v51
	v_fmac_f32_e32 v55, 0x3f68dda4, v46
	v_add_f32_e32 v13, v13, v14
	v_fma_f32 v14, v40, s4, -v54
	v_add_f32_e32 v12, v12, v55
	v_add_f32_e32 v13, v13, v14
	v_fma_f32 v14, v47, s5, -v56
	v_fmac_f32_e32 v58, 0xbf7d64f0, v59
	v_add_f32_e32 v14, v13, v14
	v_add_f32_e32 v13, v12, v58
	v_fma_f32 v12, v60, s6, -v62
	v_fmac_f32_e32 v63, 0xbf4178ce, v26
	v_add_f32_e32 v12, v14, v12
	v_add_f32_e32 v14, v25, v63
	v_fmac_f32_e32 v64, 0x3f7d64f0, v28
	v_fma_f32 v15, v32, s4, -v67
	v_add_f32_e32 v14, v14, v64
	v_fmac_f32_e32 v65, 0xbf0a6770, v30
	v_add_f32_e32 v15, v24, v15
	v_fma_f32 v16, v36, s6, -v68
	v_add_f32_e32 v14, v14, v65
	v_fmac_f32_e32 v66, 0xbe903f40, v46
	v_add_f32_e32 v15, v15, v16
	v_fma_f32 v16, v40, s1, -v69
	v_add_f32_e32 v14, v14, v66
	v_add_f32_e32 v15, v15, v16
	v_fma_f32 v16, v47, s0, -v70
	v_fmac_f32_e32 v71, 0x3f68dda4, v59
	v_add_f32_e32 v16, v15, v16
	v_add_f32_e32 v15, v14, v71
	v_fma_f32 v14, v60, s5, -v72
	v_fmac_f32_e32 v73, 0xbf7d64f0, v26
	v_add_f32_e32 v14, v16, v14
	v_add_f32_e32 v16, v25, v73
	v_fmac_f32_e32 v74, 0x3e903f40, v28
	v_fma_f32 v17, v32, s6, -v77
	v_add_f32_e32 v16, v16, v74
	v_fmac_f32_e32 v75, 0x3f68dda4, v30
	v_add_f32_e32 v17, v24, v17
	v_fma_f32 v18, v36, s0, -v78
	v_add_f32_e32 v16, v16, v75
	v_fmac_f32_e32 v76, 0xbf0a6770, v46
	v_add_f32_e32 v17, v17, v18
	v_fma_f32 v18, v40, s5, -v79
	v_add_f32_e32 v16, v16, v76
	v_add_f32_e32 v17, v17, v18
	v_fma_f32 v18, v47, s1, -v80
	v_fmac_f32_e32 v81, 0xbf4178ce, v59
	v_add_f32_e32 v18, v17, v18
	v_add_f32_e32 v17, v16, v81
	v_fma_f32 v16, v60, s4, -v82
	v_fmac_f32_e32 v83, 0xbf68dda4, v26
	v_add_f32_e32 v16, v18, v16
	v_add_f32_e32 v18, v25, v83
	v_fmac_f32_e32 v84, 0xbf4178ce, v28
	v_fma_f32 v19, v32, s5, -v87
	v_add_f32_e32 v18, v18, v84
	v_fmac_f32_e32 v85, 0x3e903f40, v30
	v_add_f32_e32 v19, v24, v19
	v_fma_f32 v21, v36, s4, -v88
	v_add_f32_e32 v18, v18, v85
	v_fmac_f32_e32 v86, 0x3f7d64f0, v46
	v_add_f32_e32 v19, v19, v21
	v_fma_f32 v21, v40, s0, -v89
	v_add_f32_e32 v18, v18, v86
	v_add_f32_e32 v19, v19, v21
	v_fma_f32 v21, v47, s6, -v90
	v_fmac_f32_e32 v92, 0x3f0a6770, v59
	v_add_f32_e32 v21, v19, v21
	v_add_f32_e32 v19, v18, v92
	v_fma_f32 v18, v60, s1, -v93
	v_fmac_f32_e32 v91, 0xbf0a6770, v26
	v_add_f32_e32 v18, v21, v18
	v_fmac_f32_e32 v94, 0xbf68dda4, v28
	v_add_f32_e32 v21, v25, v91
	v_add_f32_e32 v21, v21, v94
	v_fmac_f32_e32 v95, 0xbf7d64f0, v30
	v_add_f32_e32 v21, v21, v95
	v_fmac_f32_e32 v44, 0xbf4178ce, v46
	;; [unrolled: 2-line block ×3, first 2 shown]
	v_add_f32_e32 v25, v21, v57
	v_fma_f32 v21, v32, s1, -v34
	v_add_f32_e32 v21, v24, v21
	v_fma_f32 v24, v36, s5, -v38
	;; [unrolled: 2-line block ×5, first 2 shown]
	v_add_f32_e32 v24, v21, v24
	v_mov_b32_e32 v21, 0
	v_mov_b32_e32 v26, s3
	v_lshlrev_b64 v[20:21], 3, v[20:21]
	v_addc_co_u32_e32 v23, vcc, v26, v23, vcc
	v_add_co_u32_e32 v20, vcc, v22, v20
	v_addc_co_u32_e32 v21, vcc, v23, v21, vcc
	global_store_dwordx2 v[20:21], v[10:11], off
	global_store_dwordx2 v[20:21], v[8:9], off offset:160
	global_store_dwordx2 v[20:21], v[6:7], off offset:320
	global_store_dwordx2 v[20:21], v[4:5], off offset:480
	global_store_dwordx2 v[20:21], v[2:3], off offset:640
	global_store_dwordx2 v[20:21], v[0:1], off offset:800
	global_store_dwordx2 v[20:21], v[12:13], off offset:960
	global_store_dwordx2 v[20:21], v[14:15], off offset:1120
	global_store_dwordx2 v[20:21], v[16:17], off offset:1280
	global_store_dwordx2 v[20:21], v[18:19], off offset:1440
	global_store_dwordx2 v[20:21], v[24:25], off offset:1600
	s_endpgm
	.section	.rodata,"a",@progbits
	.p2align	6, 0x0
	.amdhsa_kernel fft_rtc_back_len220_factors_10_2_11_wgs_110_tpt_22_sp_ip_CI_unitstride_sbrr_dirReg
		.amdhsa_group_segment_fixed_size 0
		.amdhsa_private_segment_fixed_size 0
		.amdhsa_kernarg_size 88
		.amdhsa_user_sgpr_count 6
		.amdhsa_user_sgpr_private_segment_buffer 1
		.amdhsa_user_sgpr_dispatch_ptr 0
		.amdhsa_user_sgpr_queue_ptr 0
		.amdhsa_user_sgpr_kernarg_segment_ptr 1
		.amdhsa_user_sgpr_dispatch_id 0
		.amdhsa_user_sgpr_flat_scratch_init 0
		.amdhsa_user_sgpr_private_segment_size 0
		.amdhsa_uses_dynamic_stack 0
		.amdhsa_system_sgpr_private_segment_wavefront_offset 0
		.amdhsa_system_sgpr_workgroup_id_x 1
		.amdhsa_system_sgpr_workgroup_id_y 0
		.amdhsa_system_sgpr_workgroup_id_z 0
		.amdhsa_system_sgpr_workgroup_info 0
		.amdhsa_system_vgpr_workitem_id 0
		.amdhsa_next_free_vgpr 96
		.amdhsa_next_free_sgpr 22
		.amdhsa_reserve_vcc 1
		.amdhsa_reserve_flat_scratch 0
		.amdhsa_float_round_mode_32 0
		.amdhsa_float_round_mode_16_64 0
		.amdhsa_float_denorm_mode_32 3
		.amdhsa_float_denorm_mode_16_64 3
		.amdhsa_dx10_clamp 1
		.amdhsa_ieee_mode 1
		.amdhsa_fp16_overflow 0
		.amdhsa_exception_fp_ieee_invalid_op 0
		.amdhsa_exception_fp_denorm_src 0
		.amdhsa_exception_fp_ieee_div_zero 0
		.amdhsa_exception_fp_ieee_overflow 0
		.amdhsa_exception_fp_ieee_underflow 0
		.amdhsa_exception_fp_ieee_inexact 0
		.amdhsa_exception_int_div_zero 0
	.end_amdhsa_kernel
	.text
.Lfunc_end0:
	.size	fft_rtc_back_len220_factors_10_2_11_wgs_110_tpt_22_sp_ip_CI_unitstride_sbrr_dirReg, .Lfunc_end0-fft_rtc_back_len220_factors_10_2_11_wgs_110_tpt_22_sp_ip_CI_unitstride_sbrr_dirReg
                                        ; -- End function
	.section	.AMDGPU.csdata,"",@progbits
; Kernel info:
; codeLenInByte = 5436
; NumSgprs: 26
; NumVgprs: 96
; ScratchSize: 0
; MemoryBound: 0
; FloatMode: 240
; IeeeMode: 1
; LDSByteSize: 0 bytes/workgroup (compile time only)
; SGPRBlocks: 3
; VGPRBlocks: 23
; NumSGPRsForWavesPerEU: 26
; NumVGPRsForWavesPerEU: 96
; Occupancy: 2
; WaveLimiterHint : 1
; COMPUTE_PGM_RSRC2:SCRATCH_EN: 0
; COMPUTE_PGM_RSRC2:USER_SGPR: 6
; COMPUTE_PGM_RSRC2:TRAP_HANDLER: 0
; COMPUTE_PGM_RSRC2:TGID_X_EN: 1
; COMPUTE_PGM_RSRC2:TGID_Y_EN: 0
; COMPUTE_PGM_RSRC2:TGID_Z_EN: 0
; COMPUTE_PGM_RSRC2:TIDIG_COMP_CNT: 0
	.type	__hip_cuid_28b6f2e985e75d86,@object ; @__hip_cuid_28b6f2e985e75d86
	.section	.bss,"aw",@nobits
	.globl	__hip_cuid_28b6f2e985e75d86
__hip_cuid_28b6f2e985e75d86:
	.byte	0                               ; 0x0
	.size	__hip_cuid_28b6f2e985e75d86, 1

	.ident	"AMD clang version 19.0.0git (https://github.com/RadeonOpenCompute/llvm-project roc-6.4.0 25133 c7fe45cf4b819c5991fe208aaa96edf142730f1d)"
	.section	".note.GNU-stack","",@progbits
	.addrsig
	.addrsig_sym __hip_cuid_28b6f2e985e75d86
	.amdgpu_metadata
---
amdhsa.kernels:
  - .args:
      - .actual_access:  read_only
        .address_space:  global
        .offset:         0
        .size:           8
        .value_kind:     global_buffer
      - .offset:         8
        .size:           8
        .value_kind:     by_value
      - .actual_access:  read_only
        .address_space:  global
        .offset:         16
        .size:           8
        .value_kind:     global_buffer
      - .actual_access:  read_only
        .address_space:  global
        .offset:         24
        .size:           8
        .value_kind:     global_buffer
      - .offset:         32
        .size:           8
        .value_kind:     by_value
      - .actual_access:  read_only
        .address_space:  global
        .offset:         40
        .size:           8
        .value_kind:     global_buffer
      - .actual_access:  read_only
        .address_space:  global
        .offset:         48
        .size:           8
        .value_kind:     global_buffer
      - .offset:         56
        .size:           4
        .value_kind:     by_value
      - .actual_access:  read_only
        .address_space:  global
        .offset:         64
        .size:           8
        .value_kind:     global_buffer
      - .actual_access:  read_only
        .address_space:  global
        .offset:         72
        .size:           8
        .value_kind:     global_buffer
      - .address_space:  global
        .offset:         80
        .size:           8
        .value_kind:     global_buffer
    .group_segment_fixed_size: 0
    .kernarg_segment_align: 8
    .kernarg_segment_size: 88
    .language:       OpenCL C
    .language_version:
      - 2
      - 0
    .max_flat_workgroup_size: 110
    .name:           fft_rtc_back_len220_factors_10_2_11_wgs_110_tpt_22_sp_ip_CI_unitstride_sbrr_dirReg
    .private_segment_fixed_size: 0
    .sgpr_count:     26
    .sgpr_spill_count: 0
    .symbol:         fft_rtc_back_len220_factors_10_2_11_wgs_110_tpt_22_sp_ip_CI_unitstride_sbrr_dirReg.kd
    .uniform_work_group_size: 1
    .uses_dynamic_stack: false
    .vgpr_count:     96
    .vgpr_spill_count: 0
    .wavefront_size: 64
amdhsa.target:   amdgcn-amd-amdhsa--gfx906
amdhsa.version:
  - 1
  - 2
...

	.end_amdgpu_metadata
